;; amdgpu-corpus repo=zjin-lcf/HeCBench kind=compiled arch=gfx1100 opt=O3
	.text
	.amdgcn_target "amdgcn-amd-amdhsa--gfx1100"
	.amdhsa_code_object_version 6
	.protected	_Z13maskSequencesPhPKdPKhiiddddddi ; -- Begin function _Z13maskSequencesPhPKdPKhiiddddddi
	.globl	_Z13maskSequencesPhPKdPKhiiddddddi
	.p2align	8
	.type	_Z13maskSequencesPhPKdPKhiiddddddi,@function
_Z13maskSequencesPhPKdPKhiiddddddi:     ; @_Z13maskSequencesPhPKdPKhiiddddddi
; %bb.0:
	s_clause 0x1
	s_load_b32 s2, s[0:1], 0x64
	s_load_b32 s3, s[0:1], 0x50
	s_waitcnt lgkmcnt(0)
	s_and_b32 s2, s2, 0xffff
	s_delay_alu instid0(SALU_CYCLE_1) | instskip(SKIP_1) | instid1(VALU_DEP_1)
	v_mad_u64_u32 v[1:2], null, s15, s2, v[0:1]
	s_mov_b32 s2, exec_lo
	v_cmpx_gt_i32_e64 s3, v1
	s_cbranch_execz .LBB0_47
; %bb.1:
	s_clause 0x2
	s_load_b64 s[2:3], s[0:1], 0x30
	s_load_b64 s[6:7], s[0:1], 0x18
	s_load_b128 s[8:11], s[0:1], 0x20
	s_waitcnt lgkmcnt(0)
	v_div_scale_f64 v[2:3], null, s[2:3], s[2:3], 1.0
	s_delay_alu instid0(VALU_DEP_1) | instskip(SKIP_2) | instid1(VALU_DEP_1)
	v_rcp_f64_e32 v[4:5], v[2:3]
	s_waitcnt_depctr 0xfff
	v_fma_f64 v[6:7], -v[2:3], v[4:5], 1.0
	v_fma_f64 v[4:5], v[4:5], v[6:7], v[4:5]
	s_delay_alu instid0(VALU_DEP_1) | instskip(NEXT) | instid1(VALU_DEP_1)
	v_fma_f64 v[6:7], -v[2:3], v[4:5], 1.0
	v_fma_f64 v[4:5], v[4:5], v[6:7], v[4:5]
	v_div_scale_f64 v[6:7], vcc_lo, 1.0, s[2:3], 1.0
	s_delay_alu instid0(VALU_DEP_1) | instskip(NEXT) | instid1(VALU_DEP_1)
	v_mul_f64 v[8:9], v[6:7], v[4:5]
	v_fma_f64 v[2:3], -v[2:3], v[8:9], v[6:7]
	s_delay_alu instid0(VALU_DEP_1) | instskip(SKIP_1) | instid1(VALU_DEP_2)
	v_div_fmas_f64 v[2:3], v[2:3], v[4:5], v[8:9]
	v_cvt_f64_i32_e32 v[4:5], s7
	v_div_fixup_f64 v[2:3], v[2:3], s[2:3], 1.0
	s_delay_alu instid0(VALU_DEP_1)
	v_cmp_nlg_f64_e32 vcc_lo, 1.0, v[2:3]
	s_cbranch_vccnz .LBB0_23
; %bb.2:
	v_cmp_neq_f64_e32 vcc_lo, 1.0, v[2:3]
	s_mov_b32 s5, 0x3fe55555
	s_mov_b32 s4, 0x55555555
	;; [unrolled: 1-line block ×5, first 2 shown]
	s_delay_alu instid0(VALU_DEP_4) | instskip(SKIP_1) | instid1(VALU_DEP_1)
	v_cndmask_b32_e32 v9, 0x3ff00000, v5, vcc_lo
	v_cndmask_b32_e32 v8, 0, v4, vcc_lo
	v_cmp_neq_f64_e32 vcc_lo, 0, v[8:9]
	v_cndmask_b32_e32 v7, 0x3ff00000, v3, vcc_lo
	v_cndmask_b32_e32 v6, 0, v2, vcc_lo
	s_delay_alu instid0(VALU_DEP_1) | instskip(SKIP_1) | instid1(VALU_DEP_2)
	v_frexp_mant_f64_e64 v[10:11], |v[6:7]|
	v_frexp_exp_i32_f64_e32 v0, v[6:7]
	v_cmp_gt_f64_e32 vcc_lo, s[4:5], v[10:11]
	s_and_b32 s2, vcc_lo, exec_lo
	s_cselect_b32 s13, 2.0, 0x3ff00000
	s_delay_alu instid0(VALU_DEP_2) | instskip(SKIP_3) | instid1(VALU_DEP_1)
	v_subrev_co_ci_u32_e64 v0, s2, 0, v0, vcc_lo
	v_mul_f64 v[10:11], v[10:11], s[12:13]
	s_mov_b32 s2, 0x968915a9
	s_mov_b32 s3, 0x3fba6564
	v_add_f64 v[12:13], v[10:11], 1.0
	v_add_f64 v[18:19], v[10:11], -1.0
	s_delay_alu instid0(VALU_DEP_2) | instskip(SKIP_1) | instid1(VALU_DEP_1)
	v_rcp_f64_e32 v[14:15], v[12:13]
	v_add_f64 v[20:21], v[12:13], -1.0
	v_add_f64 v[10:11], v[10:11], -v[20:21]
	s_waitcnt_depctr 0xfff
	v_fma_f64 v[16:17], -v[12:13], v[14:15], 1.0
	s_delay_alu instid0(VALU_DEP_1) | instskip(NEXT) | instid1(VALU_DEP_1)
	v_fma_f64 v[14:15], v[16:17], v[14:15], v[14:15]
	v_fma_f64 v[16:17], -v[12:13], v[14:15], 1.0
	s_delay_alu instid0(VALU_DEP_1) | instskip(NEXT) | instid1(VALU_DEP_1)
	v_fma_f64 v[14:15], v[16:17], v[14:15], v[14:15]
	v_mul_f64 v[16:17], v[18:19], v[14:15]
	s_delay_alu instid0(VALU_DEP_1) | instskip(NEXT) | instid1(VALU_DEP_1)
	v_mul_f64 v[22:23], v[12:13], v[16:17]
	v_fma_f64 v[12:13], v[16:17], v[12:13], -v[22:23]
	s_delay_alu instid0(VALU_DEP_1) | instskip(NEXT) | instid1(VALU_DEP_1)
	v_fma_f64 v[10:11], v[16:17], v[10:11], v[12:13]
	v_add_f64 v[12:13], v[22:23], v[10:11]
	s_delay_alu instid0(VALU_DEP_1) | instskip(SKIP_1) | instid1(VALU_DEP_2)
	v_add_f64 v[20:21], v[18:19], -v[12:13]
	v_add_f64 v[22:23], v[12:13], -v[22:23]
	v_add_f64 v[18:19], v[18:19], -v[20:21]
	s_delay_alu instid0(VALU_DEP_2) | instskip(NEXT) | instid1(VALU_DEP_2)
	v_add_f64 v[10:11], v[22:23], -v[10:11]
	v_add_f64 v[12:13], v[18:19], -v[12:13]
	s_delay_alu instid0(VALU_DEP_1) | instskip(NEXT) | instid1(VALU_DEP_1)
	v_add_f64 v[10:11], v[10:11], v[12:13]
	v_add_f64 v[10:11], v[20:21], v[10:11]
	s_delay_alu instid0(VALU_DEP_1) | instskip(NEXT) | instid1(VALU_DEP_1)
	v_mul_f64 v[10:11], v[14:15], v[10:11]
	v_add_f64 v[12:13], v[16:17], v[10:11]
	s_delay_alu instid0(VALU_DEP_1) | instskip(SKIP_1) | instid1(VALU_DEP_2)
	v_add_f64 v[14:15], v[12:13], -v[16:17]
	v_mul_f64 v[16:17], v[12:13], v[12:13]
	v_add_f64 v[10:11], v[10:11], -v[14:15]
	s_delay_alu instid0(VALU_DEP_2) | instskip(NEXT) | instid1(VALU_DEP_2)
	v_fma_f64 v[14:15], v[12:13], v[12:13], -v[16:17]
	v_add_f64 v[18:19], v[10:11], v[10:11]
	s_delay_alu instid0(VALU_DEP_1) | instskip(NEXT) | instid1(VALU_DEP_1)
	v_fma_f64 v[14:15], v[12:13], v[18:19], v[14:15]
	v_add_f64 v[18:19], v[16:17], v[14:15]
	s_delay_alu instid0(VALU_DEP_1)
	v_fma_f64 v[20:21], v[18:19], s[14:15], s[2:3]
	s_mov_b32 s2, 0x3abe935a
	s_mov_b32 s3, 0x3fbe25e4
	v_add_f64 v[16:17], v[18:19], -v[16:17]
	v_mul_f64 v[26:27], v[12:13], v[18:19]
	s_mov_b32 s14, 0x652b82fe
	s_mov_b32 s15, 0x3ff71547
	s_delay_alu instid0(VALU_DEP_3) | instskip(SKIP_2) | instid1(VALU_DEP_3)
	v_fma_f64 v[20:21], v[18:19], v[20:21], s[2:3]
	s_mov_b32 s2, 0x47e6c9c2
	s_mov_b32 s3, 0x3fc110ef
	v_add_f64 v[14:15], v[14:15], -v[16:17]
	s_delay_alu instid0(VALU_DEP_2)
	v_fma_f64 v[20:21], v[18:19], v[20:21], s[2:3]
	s_mov_b32 s2, 0xcfa74449
	s_mov_b32 s3, 0x3fc3b13b
	s_delay_alu instid0(VALU_DEP_1) | instid1(SALU_CYCLE_1)
	v_fma_f64 v[20:21], v[18:19], v[20:21], s[2:3]
	s_mov_b32 s2, 0x71bf3c30
	s_mov_b32 s3, 0x3fc745d1
	s_delay_alu instid0(VALU_DEP_1) | instid1(SALU_CYCLE_1)
	;; [unrolled: 4-line block ×5, first 2 shown]
	v_fma_f64 v[20:21], v[18:19], v[20:21], s[2:3]
	s_mov_b32 s2, 0xd5df274d
	s_mov_b32 s3, 0x3c8543b0
	s_delay_alu instid0(VALU_DEP_1) | instskip(NEXT) | instid1(VALU_DEP_1)
	v_mul_f64 v[22:23], v[18:19], v[20:21]
	v_fma_f64 v[16:17], v[18:19], v[20:21], -v[22:23]
	s_delay_alu instid0(VALU_DEP_1) | instskip(NEXT) | instid1(VALU_DEP_1)
	v_fma_f64 v[16:17], v[14:15], v[20:21], v[16:17]
	v_add_f64 v[20:21], v[22:23], v[16:17]
	s_delay_alu instid0(VALU_DEP_1)
	v_add_f64 v[24:25], v[20:21], s[4:5]
	v_add_f64 v[22:23], v[20:21], -v[22:23]
	s_mov_b32 s5, 0xbfe55555
	s_delay_alu instid0(VALU_DEP_2) | instid1(SALU_CYCLE_1)
	v_add_f64 v[28:29], v[24:25], s[4:5]
	s_delay_alu instid0(VALU_DEP_2) | instskip(SKIP_3) | instid1(VALU_DEP_3)
	v_add_f64 v[16:17], v[16:17], -v[22:23]
	v_fma_f64 v[22:23], v[18:19], v[12:13], -v[26:27]
	s_mov_b32 s5, 0x3c7abc9e
	s_mov_b32 s4, 0x3b39803f
	v_add_f64 v[20:21], v[20:21], -v[28:29]
	s_delay_alu instid0(VALU_DEP_3) | instskip(NEXT) | instid1(VALU_DEP_3)
	v_add_f64 v[16:17], v[16:17], s[2:3]
	v_fma_f64 v[18:19], v[18:19], v[10:11], v[22:23]
	s_mov_b32 s3, 0x3fe62e42
	s_mov_b32 s2, 0xfefa39ef
	v_ldexp_f64 v[10:11], v[10:11], 1
	s_delay_alu instid0(VALU_DEP_3) | instskip(NEXT) | instid1(VALU_DEP_3)
	v_add_f64 v[16:17], v[16:17], v[20:21]
	v_fma_f64 v[14:15], v[14:15], v[12:13], v[18:19]
	v_ldexp_f64 v[12:13], v[12:13], 1
	s_delay_alu instid0(VALU_DEP_3) | instskip(NEXT) | instid1(VALU_DEP_3)
	v_add_f64 v[18:19], v[24:25], v[16:17]
	v_add_f64 v[20:21], v[26:27], v[14:15]
	s_delay_alu instid0(VALU_DEP_2) | instskip(NEXT) | instid1(VALU_DEP_2)
	v_add_f64 v[22:23], v[24:25], -v[18:19]
	v_mul_f64 v[24:25], v[20:21], v[18:19]
	v_add_f64 v[26:27], v[20:21], -v[26:27]
	s_delay_alu instid0(VALU_DEP_3) | instskip(NEXT) | instid1(VALU_DEP_3)
	v_add_f64 v[16:17], v[16:17], v[22:23]
	v_fma_f64 v[22:23], v[20:21], v[18:19], -v[24:25]
	s_delay_alu instid0(VALU_DEP_3) | instskip(NEXT) | instid1(VALU_DEP_2)
	v_add_f64 v[14:15], v[14:15], -v[26:27]
	v_fma_f64 v[16:17], v[20:21], v[16:17], v[22:23]
	s_delay_alu instid0(VALU_DEP_1) | instskip(SKIP_1) | instid1(VALU_DEP_2)
	v_fma_f64 v[14:15], v[14:15], v[18:19], v[16:17]
	v_cvt_f64_i32_e32 v[18:19], v0
	v_add_f64 v[16:17], v[24:25], v[14:15]
	s_delay_alu instid0(VALU_DEP_1) | instskip(SKIP_1) | instid1(VALU_DEP_4)
	v_add_f64 v[20:21], v[12:13], v[16:17]
	v_add_f64 v[22:23], v[16:17], -v[24:25]
	v_mul_f64 v[24:25], v[18:19], s[2:3]
	s_delay_alu instid0(VALU_DEP_3) | instskip(NEXT) | instid1(VALU_DEP_3)
	v_add_f64 v[12:13], v[20:21], -v[12:13]
	v_add_f64 v[14:15], v[14:15], -v[22:23]
	s_delay_alu instid0(VALU_DEP_3) | instskip(SKIP_1) | instid1(VALU_DEP_3)
	v_fma_f64 v[22:23], v[18:19], s[2:3], -v[24:25]
	s_mov_b32 s3, 0xbfe62e42
	v_add_f64 v[12:13], v[16:17], -v[12:13]
	s_delay_alu instid0(VALU_DEP_3) | instskip(NEXT) | instid1(VALU_DEP_3)
	v_add_f64 v[10:11], v[10:11], v[14:15]
	v_fma_f64 v[14:15], v[18:19], s[4:5], v[22:23]
	s_mov_b32 s5, 0xbc7abc9e
	s_delay_alu instid0(VALU_DEP_2) | instskip(NEXT) | instid1(VALU_DEP_2)
	v_add_f64 v[10:11], v[10:11], v[12:13]
	v_add_f64 v[12:13], v[24:25], v[14:15]
	s_delay_alu instid0(VALU_DEP_2) | instskip(NEXT) | instid1(VALU_DEP_2)
	v_add_f64 v[16:17], v[20:21], v[10:11]
	v_add_f64 v[24:25], v[12:13], -v[24:25]
	s_delay_alu instid0(VALU_DEP_2) | instskip(SKIP_1) | instid1(VALU_DEP_3)
	v_add_f64 v[18:19], v[12:13], v[16:17]
	v_add_f64 v[20:21], v[16:17], -v[20:21]
	v_add_f64 v[14:15], v[14:15], -v[24:25]
	s_delay_alu instid0(VALU_DEP_3) | instskip(NEXT) | instid1(VALU_DEP_3)
	v_add_f64 v[22:23], v[18:19], -v[12:13]
	v_add_f64 v[10:11], v[10:11], -v[20:21]
	s_delay_alu instid0(VALU_DEP_2) | instskip(SKIP_1) | instid1(VALU_DEP_3)
	v_add_f64 v[26:27], v[18:19], -v[22:23]
	v_add_f64 v[16:17], v[16:17], -v[22:23]
	v_add_f64 v[20:21], v[14:15], v[10:11]
	s_delay_alu instid0(VALU_DEP_3) | instskip(NEXT) | instid1(VALU_DEP_1)
	v_add_f64 v[12:13], v[12:13], -v[26:27]
	v_add_f64 v[12:13], v[16:17], v[12:13]
	s_delay_alu instid0(VALU_DEP_3) | instskip(NEXT) | instid1(VALU_DEP_2)
	v_add_f64 v[16:17], v[20:21], -v[14:15]
	v_add_f64 v[12:13], v[20:21], v[12:13]
	s_delay_alu instid0(VALU_DEP_2) | instskip(SKIP_1) | instid1(VALU_DEP_3)
	v_add_f64 v[20:21], v[20:21], -v[16:17]
	v_add_f64 v[10:11], v[10:11], -v[16:17]
	v_add_f64 v[22:23], v[18:19], v[12:13]
	s_delay_alu instid0(VALU_DEP_3) | instskip(NEXT) | instid1(VALU_DEP_2)
	v_add_f64 v[14:15], v[14:15], -v[20:21]
	v_add_f64 v[16:17], v[22:23], -v[18:19]
	s_delay_alu instid0(VALU_DEP_2) | instskip(NEXT) | instid1(VALU_DEP_2)
	v_add_f64 v[10:11], v[10:11], v[14:15]
	v_add_f64 v[12:13], v[12:13], -v[16:17]
	s_delay_alu instid0(VALU_DEP_1) | instskip(NEXT) | instid1(VALU_DEP_1)
	v_add_f64 v[10:11], v[10:11], v[12:13]
	v_add_f64 v[12:13], v[22:23], v[10:11]
	s_delay_alu instid0(VALU_DEP_1) | instskip(SKIP_1) | instid1(VALU_DEP_2)
	v_add_f64 v[14:15], v[12:13], -v[22:23]
	v_mul_f64 v[16:17], v[8:9], v[12:13]
	v_add_f64 v[10:11], v[10:11], -v[14:15]
	s_delay_alu instid0(VALU_DEP_2) | instskip(SKIP_1) | instid1(VALU_DEP_2)
	v_fma_f64 v[12:13], v[8:9], v[12:13], -v[16:17]
	v_cmp_class_f64_e64 vcc_lo, v[16:17], 0x204
	v_fma_f64 v[10:11], v[8:9], v[10:11], v[12:13]
	s_delay_alu instid0(VALU_DEP_1) | instskip(NEXT) | instid1(VALU_DEP_1)
	v_add_f64 v[12:13], v[16:17], v[10:11]
	v_dual_cndmask_b32 v15, v13, v17 :: v_dual_cndmask_b32 v14, v12, v16
	v_add_f64 v[12:13], v[12:13], -v[16:17]
	s_delay_alu instid0(VALU_DEP_2) | instskip(SKIP_1) | instid1(VALU_DEP_3)
	v_mul_f64 v[18:19], v[14:15], s[14:15]
	v_cmp_lt_f64_e32 vcc_lo, 0x40900000, v[14:15]
	v_add_f64 v[10:11], v[10:11], -v[12:13]
	v_mul_f64 v[12:13], v[8:9], 0.5
	s_delay_alu instid0(VALU_DEP_4) | instskip(NEXT) | instid1(VALU_DEP_1)
	v_rndne_f64_e32 v[18:19], v[18:19]
	v_fma_f64 v[20:21], v[18:19], s[2:3], v[14:15]
	s_mov_b32 s2, 0xfca7ab0c
	s_mov_b32 s3, 0x3e928af3
	v_cvt_i32_f64_e32 v0, v[18:19]
	s_delay_alu instid0(VALU_DEP_2)
	v_fma_f64 v[20:21], v[18:19], s[4:5], v[20:21]
	s_mov_b32 s4, 0x6a5dcb37
	s_mov_b32 s5, 0x3e5ade15
	s_delay_alu instid0(VALU_DEP_1) | instid1(SALU_CYCLE_1)
	v_fma_f64 v[22:23], v[20:21], s[4:5], s[2:3]
	s_mov_b32 s2, 0x623fde64
	s_mov_b32 s3, 0x3ec71dee
	s_delay_alu instid0(VALU_DEP_1) | instid1(SALU_CYCLE_1)
	;; [unrolled: 4-line block ×9, first 2 shown]
	v_fma_f64 v[22:23], v[20:21], v[22:23], s[2:3]
	v_cmp_neq_f64_e64 s2, 0x7ff00000, |v[14:15]|
	v_cmp_ngt_f64_e64 s3, 0xc090cc00, v[14:15]
	s_delay_alu instid0(VALU_DEP_3) | instskip(NEXT) | instid1(VALU_DEP_3)
	v_fma_f64 v[22:23], v[20:21], v[22:23], 1.0
	v_cndmask_b32_e64 v11, 0, v11, s2
	v_cndmask_b32_e64 v10, 0, v10, s2
	s_delay_alu instid0(VALU_DEP_3) | instskip(NEXT) | instid1(VALU_DEP_1)
	v_fma_f64 v[18:19], v[20:21], v[22:23], 1.0
	v_ldexp_f64 v[16:17], v[18:19], v0
	s_delay_alu instid0(VALU_DEP_1) | instskip(SKIP_1) | instid1(VALU_DEP_3)
	v_cndmask_b32_e64 v18, v17, 0x7ff00000, vcc_lo
	v_and_b32_e32 v17, 0x7fffffff, v17
	v_cndmask_b32_e64 v0, v16, 0, vcc_lo
	v_cmp_eq_f64_e64 s4, 0, v[6:7]
	v_cmp_class_f64_e64 s5, v[6:7], 0x204
	v_cndmask_b32_e64 v15, 0, v18, s3
	v_cmp_eq_f64_e64 s2, 0x7ff00000, v[16:17]
	v_trunc_f64_e32 v[16:17], v[12:13]
	v_trunc_f64_e32 v[18:19], v[8:9]
	v_cndmask_b32_e64 v14, 0, v0, s3
	s_delay_alu instid0(VALU_DEP_1) | instskip(SKIP_1) | instid1(VALU_DEP_4)
	v_fma_f64 v[10:11], v[14:15], v[10:11], v[14:15]
	s_or_b32 s2, vcc_lo, s2
	v_cmp_neq_f64_e32 vcc_lo, v[16:17], v[12:13]
	s_and_b32 s2, s3, s2
	s_delay_alu instid0(VALU_DEP_4) | instskip(NEXT) | instid1(VALU_DEP_3)
	v_cmp_eq_f64_e64 s3, v[18:19], v[8:9]
	v_cndmask_b32_e64 v0, v10, v14, s2
	s_delay_alu instid0(VALU_DEP_4) | instskip(SKIP_1) | instid1(VALU_DEP_4)
	v_cndmask_b32_e64 v10, v11, v15, s2
	v_cmp_gt_f64_e64 s2, 0, v[8:9]
	s_and_b32 vcc_lo, s3, vcc_lo
	s_delay_alu instid0(VALU_DEP_3) | instskip(SKIP_1) | instid1(VALU_DEP_1)
	v_cndmask_b32_e64 v11, 0, v0, s3
	v_cndmask_b32_e32 v12, 0x3ff00000, v7, vcc_lo
	v_bfi_b32 v10, 0x7fffffff, v10, v12
	s_delay_alu instid0(VALU_DEP_4) | instskip(NEXT) | instid1(VALU_DEP_1)
	s_xor_b32 s2, s2, s4
	v_cndmask_b32_e64 v8, 0x7ff80000, v10, s3
	v_cmp_gt_f64_e64 s3, 0, v[6:7]
	v_cndmask_b32_e32 v6, 0, v7, vcc_lo
	s_or_b32 vcc_lo, s5, s4
	s_and_b32 s2, s2, exec_lo
	s_cselect_b32 s2, 0, 0x7ff00000
	s_delay_alu instid0(VALU_DEP_2) | instskip(SKIP_2) | instid1(VALU_DEP_2)
	v_cndmask_b32_e64 v7, v10, v8, s3
	v_cndmask_b32_e64 v0, v0, v11, s3
	v_bfi_b32 v8, 0x7fffffff, s2, v6
	v_cndmask_b32_e64 v6, v0, 0, vcc_lo
	s_delay_alu instid0(VALU_DEP_2) | instskip(SKIP_1) | instid1(VALU_DEP_2)
	v_cndmask_b32_e32 v7, v7, v8, vcc_lo
	v_add_f64 v[8:9], -v[2:3], 1.0
	v_add_f64 v[6:7], -v[6:7], 1.0
	s_delay_alu instid0(VALU_DEP_1) | instskip(NEXT) | instid1(VALU_DEP_1)
	v_div_scale_f64 v[10:11], null, v[6:7], v[6:7], v[8:9]
	v_rcp_f64_e32 v[12:13], v[10:11]
	s_waitcnt_depctr 0xfff
	v_fma_f64 v[14:15], -v[10:11], v[12:13], 1.0
	s_delay_alu instid0(VALU_DEP_1) | instskip(NEXT) | instid1(VALU_DEP_1)
	v_fma_f64 v[12:13], v[12:13], v[14:15], v[12:13]
	v_fma_f64 v[14:15], -v[10:11], v[12:13], 1.0
	s_delay_alu instid0(VALU_DEP_1) | instskip(SKIP_1) | instid1(VALU_DEP_1)
	v_fma_f64 v[12:13], v[12:13], v[14:15], v[12:13]
	v_div_scale_f64 v[14:15], vcc_lo, v[8:9], v[6:7], v[8:9]
	v_mul_f64 v[16:17], v[14:15], v[12:13]
	s_delay_alu instid0(VALU_DEP_1) | instskip(NEXT) | instid1(VALU_DEP_1)
	v_fma_f64 v[10:11], -v[10:11], v[16:17], v[14:15]
	v_div_fmas_f64 v[10:11], v[10:11], v[12:13], v[16:17]
	s_delay_alu instid0(VALU_DEP_1)
	v_div_fixup_f64 v[6:7], v[10:11], v[6:7], v[8:9]
	s_cbranch_execnz .LBB0_4
.LBB0_3:
	s_delay_alu instid0(VALU_DEP_3) | instskip(NEXT) | instid1(VALU_DEP_1)
	v_div_scale_f64 v[6:7], null, v[4:5], v[4:5], 1.0
	v_rcp_f64_e32 v[8:9], v[6:7]
	s_waitcnt_depctr 0xfff
	v_fma_f64 v[10:11], -v[6:7], v[8:9], 1.0
	s_delay_alu instid0(VALU_DEP_1) | instskip(NEXT) | instid1(VALU_DEP_1)
	v_fma_f64 v[8:9], v[8:9], v[10:11], v[8:9]
	v_fma_f64 v[10:11], -v[6:7], v[8:9], 1.0
	s_delay_alu instid0(VALU_DEP_1) | instskip(SKIP_1) | instid1(VALU_DEP_1)
	v_fma_f64 v[8:9], v[8:9], v[10:11], v[8:9]
	v_div_scale_f64 v[10:11], vcc_lo, 1.0, v[4:5], 1.0
	v_mul_f64 v[12:13], v[10:11], v[8:9]
	s_delay_alu instid0(VALU_DEP_1) | instskip(NEXT) | instid1(VALU_DEP_1)
	v_fma_f64 v[6:7], -v[6:7], v[12:13], v[10:11]
	v_div_fmas_f64 v[6:7], v[6:7], v[8:9], v[12:13]
	s_delay_alu instid0(VALU_DEP_1)
	v_div_fixup_f64 v[6:7], v[6:7], v[4:5], 1.0
.LBB0_4:
	s_cmp_gt_i32 s7, 0
	s_mov_b32 s4, -1
	s_cselect_b32 s12, -1, 0
	s_cmp_lt_i32 s7, 1
	s_cbranch_scc0 .LBB0_6
; %bb.5:
	s_mov_b32 s4, 0
.LBB0_6:
	s_delay_alu instid0(VALU_DEP_1)
	v_mul_f64 v[12:13], v[6:7], s[8:9]
	s_load_b64 s[2:3], s[0:1], 0x8
	s_and_not1_b32 vcc_lo, exec_lo, s4
	s_cbranch_vccnz .LBB0_11
; %bb.7:
	s_delay_alu instid0(VALU_DEP_1) | instskip(NEXT) | instid1(VALU_DEP_2)
	v_mov_b32_e32 v4, v12
	v_dual_mov_b32 v0, 0x90 :: v_dual_mov_b32 v5, v13
	s_mov_b32 s4, s7
.LBB0_8:                                ; =>This Inner Loop Header: Depth=1
	scratch_store_b64 v0, v[4:5], off
	v_mul_f64 v[4:5], v[2:3], v[4:5]
	v_add_nc_u32_e32 v0, 8, v0
	s_add_i32 s4, s4, -1
	s_delay_alu instid0(SALU_CYCLE_1)
	s_cmp_eq_u32 s4, 0
	s_cbranch_scc0 .LBB0_8
; %bb.9:
	v_mov_b32_e32 v2, 0
	v_mov_b32_e32 v0, 0x220
	s_mov_b32 s4, s7
	s_delay_alu instid0(VALU_DEP_2)
	v_mov_b32_e32 v3, v2
.LBB0_10:                               ; =>This Inner Loop Header: Depth=1
	scratch_store_b64 v0, v[2:3], off
	v_add_nc_u32_e32 v0, 8, v0
	s_add_i32 s4, s4, -1
	s_delay_alu instid0(SALU_CYCLE_1)
	s_cmp_eq_u32 s4, 0
	s_cbranch_scc0 .LBB0_10
.LBB0_11:
	v_add_f64 v[8:9], -s[8:9], 1.0
	v_add_f64 v[10:11], -s[10:11], 1.0
	s_clause 0x1
	s_load_b64 s[8:9], s[0:1], 0x0
	s_load_b64 s[4:5], s[0:1], 0x10
	v_lshl_add_u32 v18, v1, 5, v1
	v_mov_b32_e32 v14, 0
	v_mov_b32_e32 v15, 0x3ff00000
	s_cmp_gt_i32 s6, 0
	s_mov_b32 s14, 0
	v_ashrrev_i32_e32 v19, 31, v18
	s_cselect_b32 s13, -1, 0
	s_cmp_lt_i32 s6, 1
	s_waitcnt lgkmcnt(0)
	v_add_co_u32 v6, vcc_lo, s8, v18
	v_add_co_ci_u32_e32 v7, vcc_lo, s9, v19, vcc_lo
	s_cbranch_scc1 .LBB0_24
; %bb.12:
	s_lshl_b32 s0, s7, 3
	v_dual_mov_b32 v14, 0 :: v_dual_mov_b32 v17, 0
	v_add_nc_u32_e64 v20, 0x220, -8
	v_add_nc_u32_e64 v21, 0x90, s0
	v_mov_b32_e32 v15, 0x3ff00000
                                        ; implicit-def: $vgpr0_vgpr1
                                        ; implicit-def: $vgpr2_vgpr3_vgpr4_vgpr5
	s_branch .LBB0_15
.LBB0_13:                               ;   in Loop: Header=BB0_15 Depth=1
	v_mov_b32_e32 v14, 0
	s_delay_alu instid0(VALU_DEP_2) | instskip(NEXT) | instid1(VALU_DEP_3)
	v_cndmask_b32_e64 v1, v1, v3, s1
	v_cndmask_b32_e64 v0, v0, v2, s1
	;; [unrolled: 1-line block ×3, first 2 shown]
	v_mov_b32_e32 v15, 0x3ff00000
	v_cndmask_b32_e64 v4, v4, v2, s0
.LBB0_14:                               ;   in Loop: Header=BB0_15 Depth=1
	s_delay_alu instid0(VALU_DEP_1)
	v_cvt_f32_f64_e32 v2, v[14:15]
	s_lshl_b32 s0, s14, 2
	s_add_i32 s14, s14, 1
	s_add_i32 s0, s0, 0
	s_cmp_eq_u32 s14, s6
	scratch_store_b32 off, v2, s0
	s_cbranch_scc1 .LBB0_25
.LBB0_15:                               ; =>This Loop Header: Depth=1
                                        ;     Child Loop BB0_17 Depth 2
                                        ;     Child Loop BB0_22 Depth 2
	s_min_i32 s15, s7, s14
	s_cmp_eq_u32 s14, 0
	s_cbranch_scc1 .LBB0_18
; %bb.16:                               ;   in Loop: Header=BB0_15 Depth=1
	v_add_co_u32 v2, vcc_lo, v6, s14
	v_add_co_ci_u32_e32 v3, vcc_lo, 0, v7, vcc_lo
	s_lshl_b32 s0, s15, 3
	s_mov_b32 s1, 0
	v_subrev_nc_u32_e32 v23, s0, v21
	global_load_u8 v2, v[2:3], off
	v_add_nc_u32_e32 v24, s0, v20
	s_sub_i32 s0, s14, s15
	s_waitcnt vmcnt(0)
	v_mul_lo_u32 v22, v2, s6
	v_mov_b32_e32 v2, 0
	v_mov_b32_e32 v3, 0
	s_set_inst_prefetch_distance 0x1
	.p2align	6
.LBB0_17:                               ;   Parent Loop BB0_15 Depth=1
                                        ; =>  This Inner Loop Header: Depth=2
	s_add_i32 s16, s0, s1
	s_add_i32 s1, s1, 1
	s_ashr_i32 s17, s16, 31
	v_add_co_u32 v25, vcc_lo, v6, s16
	v_add_co_ci_u32_e32 v26, vcc_lo, s17, v7, vcc_lo
	s_cmp_ge_u32 s1, s14
	global_load_u8 v16, v[25:26], off
	scratch_load_b64 v[25:26], v23, off
	scratch_load_b64 v[27:28], v24, off
	v_add_nc_u32_e32 v23, 8, v23
	s_waitcnt vmcnt(2)
	v_add_nc_u32_e32 v16, v22, v16
	s_waitcnt vmcnt(1)
	v_mul_f64 v[25:26], v[14:15], v[25:26]
	s_waitcnt vmcnt(0)
	v_add_f64 v[2:3], v[2:3], v[27:28]
	v_lshlrev_b64 v[29:30], 3, v[16:17]
	s_delay_alu instid0(VALU_DEP_1) | instskip(NEXT) | instid1(VALU_DEP_2)
	v_add_co_u32 v29, vcc_lo, s2, v29
	v_add_co_ci_u32_e32 v30, vcc_lo, s3, v30, vcc_lo
	global_load_b64 v[29:30], v[29:30], off
	v_fma_f64 v[25:26], v[10:11], v[27:28], v[25:26]
	s_waitcnt vmcnt(0)
	s_delay_alu instid0(VALU_DEP_1)
	v_mul_f64 v[25:26], v[29:30], v[25:26]
	scratch_store_b64 v24, v[25:26], off
	v_add_nc_u32_e32 v24, -8, v24
	s_cbranch_scc0 .LBB0_17
	s_branch .LBB0_19
.LBB0_18:                               ;   in Loop: Header=BB0_15 Depth=1
	v_mov_b32_e32 v2, 0
	v_mov_b32_e32 v3, 0
.LBB0_19:                               ;   in Loop: Header=BB0_15 Depth=1
	s_set_inst_prefetch_distance 0x2
	s_delay_alu instid0(VALU_DEP_1) | instskip(SKIP_1) | instid1(SALU_CYCLE_1)
	v_mul_f64 v[2:3], v[2:3], s[10:11]
	s_and_b32 s0, s14, 15
	s_cmp_eq_u32 s0, 15
	s_delay_alu instid0(VALU_DEP_1)
	v_fma_f64 v[14:15], v[8:9], v[14:15], v[2:3]
	s_cbranch_scc0 .LBB0_14
; %bb.20:                               ;   in Loop: Header=BB0_15 Depth=1
	s_delay_alu instid0(VALU_DEP_1) | instskip(SKIP_1) | instid1(SALU_CYCLE_1)
	v_div_scale_f64 v[2:3], null, v[14:15], v[14:15], 1.0
	s_lshr_b32 s0, s14, 4
	s_cmp_eq_u32 s0, 0
	s_cselect_b32 s1, -1, 0
	s_cmp_eq_u32 s0, 1
	s_cselect_b32 s0, -1, 0
	s_delay_alu instid0(VALU_DEP_1) | instskip(SKIP_2) | instid1(VALU_DEP_1)
	v_rcp_f64_e32 v[22:23], v[2:3]
	s_waitcnt_depctr 0xfff
	v_fma_f64 v[24:25], -v[2:3], v[22:23], 1.0
	v_fma_f64 v[22:23], v[22:23], v[24:25], v[22:23]
	s_delay_alu instid0(VALU_DEP_1) | instskip(NEXT) | instid1(VALU_DEP_1)
	v_fma_f64 v[24:25], -v[2:3], v[22:23], 1.0
	v_fma_f64 v[22:23], v[22:23], v[24:25], v[22:23]
	v_div_scale_f64 v[24:25], vcc_lo, 1.0, v[14:15], 1.0
	s_delay_alu instid0(VALU_DEP_1) | instskip(NEXT) | instid1(VALU_DEP_1)
	v_mul_f64 v[26:27], v[24:25], v[22:23]
	v_fma_f64 v[2:3], -v[2:3], v[26:27], v[24:25]
	s_delay_alu instid0(VALU_DEP_1) | instskip(SKIP_1) | instid1(VALU_DEP_1)
	v_div_fmas_f64 v[2:3], v[2:3], v[22:23], v[26:27]
	s_and_not1_b32 vcc_lo, exec_lo, s12
	v_div_fixup_f64 v[2:3], v[2:3], v[14:15], 1.0
	s_cbranch_vccnz .LBB0_13
; %bb.21:                               ;   in Loop: Header=BB0_15 Depth=1
	v_mov_b32_e32 v14, 0x220
	s_max_i32 s15, s15, 1
.LBB0_22:                               ;   Parent Loop BB0_15 Depth=1
                                        ; =>  This Inner Loop Header: Depth=2
	scratch_load_b64 v[15:16], v14, off
	s_add_i32 s15, s15, -1
	s_delay_alu instid0(SALU_CYCLE_1)
	s_cmp_lg_u32 s15, 0
	s_waitcnt vmcnt(0)
	v_mul_f64 v[15:16], v[2:3], v[15:16]
	scratch_store_b64 v14, v[15:16], off
	v_add_nc_u32_e32 v14, 8, v14
	s_cbranch_scc1 .LBB0_22
	s_branch .LBB0_13
.LBB0_23:
                                        ; implicit-def: $vgpr6_vgpr7
	s_branch .LBB0_3
.LBB0_24:
                                        ; implicit-def: $vgpr4_vgpr5
                                        ; implicit-def: $vgpr0_vgpr1_vgpr2_vgpr3
.LBB0_25:
	s_and_not1_b32 vcc_lo, exec_lo, s12
	s_cbranch_vccnz .LBB0_29
; %bb.26:
	v_dual_mov_b32 v2, 0 :: v_dual_mov_b32 v17, s11
	v_dual_mov_b32 v20, 0x220 :: v_dual_mov_b32 v3, 0
	v_mov_b32_e32 v16, s10
	s_mov_b32 s0, s7
.LBB0_27:                               ; =>This Inner Loop Header: Depth=1
	scratch_load_b64 v[21:22], v20, off
	scratch_store_b64 v20, v[16:17], off
	v_add_nc_u32_e32 v20, 8, v20
	s_add_i32 s0, s0, -1
	s_delay_alu instid0(SALU_CYCLE_1)
	s_cmp_eq_u32 s0, 0
	s_waitcnt vmcnt(0)
	v_add_f64 v[2:3], v[2:3], v[21:22]
	s_cbranch_scc0 .LBB0_27
; %bb.28:
	s_and_not1_b32 vcc_lo, exec_lo, s13
	s_cbranch_vccz .LBB0_30
	s_branch .LBB0_47
.LBB0_29:
	v_mov_b32_e32 v2, 0
	v_mov_b32_e32 v3, 0
	s_and_not1_b32 vcc_lo, exec_lo, s13
	s_cbranch_vccnz .LBB0_47
.LBB0_30:
	s_delay_alu instid0(VALU_DEP_1) | instskip(SKIP_2) | instid1(VALU_DEP_2)
	v_mul_f64 v[2:3], v[2:3], s[10:11]
	v_div_scale_f64 v[16:17], null, v[12:13], v[12:13], 1.0
	s_ashr_i32 s1, s6, 31
	v_fma_f64 v[2:3], v[8:9], v[14:15], v[2:3]
	s_delay_alu instid0(VALU_DEP_2) | instskip(NEXT) | instid1(VALU_DEP_1)
	v_rcp_f64_e32 v[22:23], v[16:17]
	v_div_scale_f64 v[14:15], null, v[2:3], v[2:3], 1.0
	v_div_scale_f64 v[28:29], vcc_lo, 1.0, v[2:3], 1.0
	s_waitcnt_depctr 0xfff
	v_fma_f64 v[26:27], -v[16:17], v[22:23], 1.0
	v_rcp_f64_e32 v[20:21], v[14:15]
	s_delay_alu instid0(VALU_DEP_1) | instskip(SKIP_3) | instid1(VALU_DEP_2)
	v_fma_f64 v[22:23], v[22:23], v[26:27], v[22:23]
	s_waitcnt_depctr 0xfff
	v_fma_f64 v[24:25], -v[14:15], v[20:21], 1.0
	v_fma_f64 v[26:27], -v[16:17], v[22:23], 1.0
	v_fma_f64 v[20:21], v[20:21], v[24:25], v[20:21]
	s_delay_alu instid0(VALU_DEP_2) | instskip(NEXT) | instid1(VALU_DEP_2)
	v_fma_f64 v[22:23], v[22:23], v[26:27], v[22:23]
	v_fma_f64 v[24:25], -v[14:15], v[20:21], 1.0
	s_delay_alu instid0(VALU_DEP_1) | instskip(SKIP_1) | instid1(VALU_DEP_2)
	v_fma_f64 v[20:21], v[20:21], v[24:25], v[20:21]
	v_div_scale_f64 v[24:25], s0, 1.0, v[12:13], 1.0
	v_mul_f64 v[26:27], v[28:29], v[20:21]
	s_delay_alu instid0(VALU_DEP_2) | instskip(NEXT) | instid1(VALU_DEP_2)
	v_mul_f64 v[30:31], v[24:25], v[22:23]
	v_fma_f64 v[14:15], -v[14:15], v[26:27], v[28:29]
	s_delay_alu instid0(VALU_DEP_2) | instskip(SKIP_1) | instid1(VALU_DEP_3)
	v_fma_f64 v[16:17], -v[16:17], v[30:31], v[24:25]
	v_add_nc_u32_e64 v28, 0x90, -8
	v_div_fmas_f64 v[14:15], v[14:15], v[20:21], v[26:27]
	s_mov_b32 vcc_lo, s0
	s_add_i32 s0, s6, -1
	s_delay_alu instid0(VALU_DEP_3) | instskip(SKIP_4) | instid1(VALU_DEP_4)
	v_div_fmas_f64 v[16:17], v[16:17], v[22:23], v[30:31]
	s_add_u32 s8, s8, s6
	s_addc_u32 s1, s9, s1
	v_add_nc_u32_e64 v26, 0, -4
	v_or_b32_e64 v27, 0x90, 8
	v_div_fixup_f64 v[2:3], v[14:15], v[2:3], 1.0
	v_add_co_u32 v14, vcc_lo, s8, v18
	v_div_fixup_f64 v[12:13], v[16:17], v[12:13], 1.0
	v_add_co_ci_u32_e32 v15, vcc_lo, s1, v19, vcc_lo
	s_delay_alu instid0(VALU_DEP_3) | instskip(SKIP_1) | instid1(VALU_DEP_3)
	v_add_co_u32 v14, vcc_lo, v14, -2
	v_mov_b32_e32 v19, v9
	v_add_co_ci_u32_e32 v15, vcc_lo, -1, v15, vcc_lo
	v_dual_mov_b32 v17, 0 :: v_dual_mov_b32 v18, v8
	s_mov_b32 s1, s6
	s_branch .LBB0_32
.LBB0_31:                               ;   in Loop: Header=BB0_32 Depth=1
	s_delay_alu instid0(VALU_DEP_1)
	v_mul_f64 v[20:21], v[20:21], v[22:23]
	v_add_co_u32 v14, vcc_lo, v14, -1
	v_add_co_ci_u32_e32 v15, vcc_lo, -1, v15, vcc_lo
	s_add_i32 s0, s0, -1
	s_cmp_gt_i32 s1, 1
	s_mov_b32 s1, s8
	s_delay_alu instid0(VALU_DEP_3)
	v_fma_f64 v[18:19], v[8:9], v[18:19], v[20:21]
	s_cbranch_scc0 .LBB0_43
.LBB0_32:                               ; =>This Loop Header: Depth=1
                                        ;     Child Loop BB0_35 Depth 2
                                        ;     Child Loop BB0_39 Depth 2
	s_lshl_b32 s8, s1, 2
	s_min_i32 s9, s7, s0
	v_add_nc_u32_e32 v16, s8, v26
	s_add_i32 s8, s1, -1
	s_delay_alu instid0(SALU_CYCLE_1)
	s_and_b32 s13, s8, 15
	s_min_i32 s12, s7, s8
	scratch_load_b32 v20, v16, off
	s_cmp_lg_u32 s13, 15
	s_waitcnt vmcnt(0)
	v_cvt_f64_f32_e32 v[20:21], v20
	s_delay_alu instid0(VALU_DEP_1) | instskip(NEXT) | instid1(VALU_DEP_1)
	v_mul_f64 v[20:21], v[18:19], v[20:21]
	v_mul_f64 v[20:21], v[2:3], v[20:21]
	s_delay_alu instid0(VALU_DEP_1) | instskip(NEXT) | instid1(VALU_DEP_1)
	v_cvt_f32_f64_e32 v20, v[20:21]
	v_sub_f32_e32 v20, 1.0, v20
	scratch_store_b32 v16, v20, off
	s_cbranch_scc1 .LBB0_37
; %bb.33:                               ;   in Loop: Header=BB0_32 Depth=1
	s_lshr_b32 s13, s8, 4
	s_delay_alu instid0(SALU_CYCLE_1)
	s_cmp_eq_u32 s13, 1
	s_cselect_b32 vcc_lo, -1, 0
	s_cmp_lt_i32 s12, 1
	v_dual_cndmask_b32 v21, v1, v5 :: v_dual_cndmask_b32 v20, v0, v4
	s_cbranch_scc1 .LBB0_36
; %bb.34:                               ;   in Loop: Header=BB0_32 Depth=1
	v_mov_b32_e32 v16, 0x220
	s_mov_b32 s13, s9
.LBB0_35:                               ;   Parent Loop BB0_32 Depth=1
                                        ; =>  This Inner Loop Header: Depth=2
	scratch_load_b64 v[22:23], v16, off
	s_add_i32 s13, s13, -1
	s_delay_alu instid0(SALU_CYCLE_1)
	s_cmp_eq_u32 s13, 0
	s_waitcnt vmcnt(0)
	v_mul_f64 v[22:23], v[20:21], v[22:23]
	scratch_store_b64 v16, v[22:23], off
	v_add_nc_u32_e32 v16, 8, v16
	s_cbranch_scc0 .LBB0_35
.LBB0_36:                               ;   in Loop: Header=BB0_32 Depth=1
	s_delay_alu instid0(VALU_DEP_1)
	v_mul_f64 v[18:19], v[18:19], v[20:21]
.LBB0_37:                               ;   in Loop: Header=BB0_32 Depth=1
	s_cmp_lt_i32 s12, 1
	s_cbranch_scc1 .LBB0_41
; %bb.38:                               ;   in Loop: Header=BB0_32 Depth=1
	v_add_co_u32 v20, vcc_lo, v6, s8
	v_add_co_ci_u32_e32 v21, vcc_lo, 0, v7, vcc_lo
	s_delay_alu instid0(VALU_DEP_3)
	v_mul_f64 v[22:23], v[18:19], s[10:11]
	s_lshl_b32 s12, s9, 3
	v_mov_b32_e32 v25, v15
	global_load_u8 v16, v[20:21], off
	v_dual_mov_b32 v20, 0 :: v_dual_add_nc_u32 v29, s12, v28
	v_dual_mov_b32 v31, 0x220 :: v_dual_mov_b32 v24, v14
	v_mov_b32_e32 v21, 0
	s_waitcnt vmcnt(0)
	v_mul_lo_u32 v30, v16, s6
	.p2align	6
.LBB0_39:                               ;   Parent Loop BB0_32 Depth=1
                                        ; =>  This Inner Loop Header: Depth=2
	global_load_u8 v16, v[24:25], off
	s_add_i32 s9, s9, -1
	s_delay_alu instid0(SALU_CYCLE_1) | instskip(SKIP_2) | instid1(VALU_DEP_1)
	s_cmp_eq_u32 s9, 0
	s_waitcnt vmcnt(0)
	v_add_nc_u32_e32 v16, v30, v16
	v_lshlrev_b64 v[32:33], 3, v[16:17]
	s_delay_alu instid0(VALU_DEP_1) | instskip(NEXT) | instid1(VALU_DEP_2)
	v_add_co_u32 v32, vcc_lo, s2, v32
	v_add_co_ci_u32_e32 v33, vcc_lo, s3, v33, vcc_lo
	v_add_co_u32 v24, vcc_lo, v24, -1
	scratch_load_b64 v[34:35], v31, off
	global_load_b64 v[32:33], v[32:33], off
	scratch_load_b64 v[36:37], v29, off
	v_add_nc_u32_e32 v29, -8, v29
	v_add_co_ci_u32_e32 v25, vcc_lo, -1, v25, vcc_lo
	s_waitcnt vmcnt(1)
	v_mul_f64 v[32:33], v[34:35], v[32:33]
	s_delay_alu instid0(VALU_DEP_1)
	v_fma_f64 v[34:35], v[10:11], v[32:33], v[22:23]
	s_waitcnt vmcnt(0)
	v_fma_f64 v[20:21], v[36:37], v[32:33], v[20:21]
	scratch_store_b64 v31, v[34:35], off
	v_add_nc_u32_e32 v31, 8, v31
	s_cbranch_scc0 .LBB0_39
; %bb.40:                               ;   in Loop: Header=BB0_32 Depth=1
	v_mov_b32_e32 v22, 0
	v_mov_b32_e32 v23, 0x3ff00000
	s_cmp_le_i32 s8, s7
	s_cbranch_scc0 .LBB0_31
	s_branch .LBB0_42
.LBB0_41:                               ;   in Loop: Header=BB0_32 Depth=1
	v_mov_b32_e32 v20, 0
	v_dual_mov_b32 v21, 0 :: v_dual_mov_b32 v22, 0
	v_mov_b32_e32 v23, 0x3ff00000
	s_cmp_le_i32 s8, s7
	s_cbranch_scc0 .LBB0_31
.LBB0_42:                               ;   in Loop: Header=BB0_32 Depth=1
	s_sub_i32 s9, s7, s1
	s_delay_alu instid0(SALU_CYCLE_1) | instskip(NEXT) | instid1(SALU_CYCLE_1)
	s_lshl_b32 s9, s9, 3
	v_add_nc_u32_e32 v16, s9, v27
	scratch_load_b64 v[22:23], v16, off
	s_waitcnt vmcnt(0)
	v_mul_f64 v[22:23], v[12:13], v[22:23]
	s_branch .LBB0_31
.LBB0_43:
	v_mov_b32_e32 v0, 0
	s_set_inst_prefetch_distance 0x1
	s_branch .LBB0_45
	.p2align	6
.LBB0_44:                               ;   in Loop: Header=BB0_45 Depth=1
	s_or_b32 exec_lo, exec_lo, s0
	v_add_co_u32 v6, vcc_lo, v6, 1
	v_add_nc_u32_e32 v0, 4, v0
	v_add_co_ci_u32_e32 v7, vcc_lo, 0, v7, vcc_lo
	s_add_i32 s6, s6, -1
	s_delay_alu instid0(SALU_CYCLE_1)
	s_cmp_lg_u32 s6, 0
	s_cbranch_scc0 .LBB0_47
.LBB0_45:                               ; =>This Inner Loop Header: Depth=1
	scratch_load_b32 v1, v0, off
	s_mov_b32 s0, exec_lo
	s_waitcnt vmcnt(0)
	v_cmpx_le_f32_e32 0.5, v1
	s_cbranch_execz .LBB0_44
; %bb.46:                               ;   in Loop: Header=BB0_45 Depth=1
	global_load_u8 v1, v[6:7], off
	s_waitcnt vmcnt(0)
	v_and_b32_e32 v1, 0xffff, v1
	s_delay_alu instid0(VALU_DEP_1) | instskip(NEXT) | instid1(VALU_DEP_1)
	v_add_co_u32 v1, s1, s4, v1
	v_add_co_ci_u32_e64 v2, null, s5, 0, s1
	global_load_u8 v1, v[1:2], off
	s_waitcnt vmcnt(0)
	global_store_b8 v[6:7], v1, off
	s_branch .LBB0_44
.LBB0_47:
	s_set_inst_prefetch_distance 0x2
	s_endpgm
	.section	.rodata,"a",@progbits
	.p2align	6, 0x0
	.amdhsa_kernel _Z13maskSequencesPhPKdPKhiiddddddi
		.amdhsa_group_segment_fixed_size 0
		.amdhsa_private_segment_fixed_size 960
		.amdhsa_kernarg_size 344
		.amdhsa_user_sgpr_count 15
		.amdhsa_user_sgpr_dispatch_ptr 0
		.amdhsa_user_sgpr_queue_ptr 0
		.amdhsa_user_sgpr_kernarg_segment_ptr 1
		.amdhsa_user_sgpr_dispatch_id 0
		.amdhsa_user_sgpr_private_segment_size 0
		.amdhsa_wavefront_size32 1
		.amdhsa_uses_dynamic_stack 0
		.amdhsa_enable_private_segment 1
		.amdhsa_system_sgpr_workgroup_id_x 1
		.amdhsa_system_sgpr_workgroup_id_y 0
		.amdhsa_system_sgpr_workgroup_id_z 0
		.amdhsa_system_sgpr_workgroup_info 0
		.amdhsa_system_vgpr_workitem_id 0
		.amdhsa_next_free_vgpr 38
		.amdhsa_next_free_sgpr 18
		.amdhsa_reserve_vcc 1
		.amdhsa_float_round_mode_32 0
		.amdhsa_float_round_mode_16_64 0
		.amdhsa_float_denorm_mode_32 3
		.amdhsa_float_denorm_mode_16_64 3
		.amdhsa_dx10_clamp 1
		.amdhsa_ieee_mode 1
		.amdhsa_fp16_overflow 0
		.amdhsa_workgroup_processor_mode 1
		.amdhsa_memory_ordered 1
		.amdhsa_forward_progress 0
		.amdhsa_shared_vgpr_count 0
		.amdhsa_exception_fp_ieee_invalid_op 0
		.amdhsa_exception_fp_denorm_src 0
		.amdhsa_exception_fp_ieee_div_zero 0
		.amdhsa_exception_fp_ieee_overflow 0
		.amdhsa_exception_fp_ieee_underflow 0
		.amdhsa_exception_fp_ieee_inexact 0
		.amdhsa_exception_int_div_zero 0
	.end_amdhsa_kernel
	.text
.Lfunc_end0:
	.size	_Z13maskSequencesPhPKdPKhiiddddddi, .Lfunc_end0-_Z13maskSequencesPhPKdPKhiiddddddi
                                        ; -- End function
	.section	.AMDGPU.csdata,"",@progbits
; Kernel info:
; codeLenInByte = 4604
; NumSgprs: 20
; NumVgprs: 38
; ScratchSize: 960
; MemoryBound: 0
; FloatMode: 240
; IeeeMode: 1
; LDSByteSize: 0 bytes/workgroup (compile time only)
; SGPRBlocks: 2
; VGPRBlocks: 4
; NumSGPRsForWavesPerEU: 20
; NumVGPRsForWavesPerEU: 38
; Occupancy: 16
; WaveLimiterHint : 1
; COMPUTE_PGM_RSRC2:SCRATCH_EN: 1
; COMPUTE_PGM_RSRC2:USER_SGPR: 15
; COMPUTE_PGM_RSRC2:TRAP_HANDLER: 0
; COMPUTE_PGM_RSRC2:TGID_X_EN: 1
; COMPUTE_PGM_RSRC2:TGID_Y_EN: 0
; COMPUTE_PGM_RSRC2:TGID_Z_EN: 0
; COMPUTE_PGM_RSRC2:TIDIG_COMP_CNT: 0
	.text
	.p2alignl 7, 3214868480
	.fill 96, 4, 3214868480
	.protected	_ZN7Masking8bit_maskE   ; @_ZN7Masking8bit_maskE
	.type	_ZN7Masking8bit_maskE,@object
	.section	.rodata,"a",@progbits
	.globl	_ZN7Masking8bit_maskE
_ZN7Masking8bit_maskE:
	.byte	128                             ; 0x80
	.size	_ZN7Masking8bit_maskE, 1

	.type	__hip_cuid_ee4a54d34a187a14,@object ; @__hip_cuid_ee4a54d34a187a14
	.section	.bss,"aw",@nobits
	.globl	__hip_cuid_ee4a54d34a187a14
__hip_cuid_ee4a54d34a187a14:
	.byte	0                               ; 0x0
	.size	__hip_cuid_ee4a54d34a187a14, 1

	.ident	"AMD clang version 19.0.0git (https://github.com/RadeonOpenCompute/llvm-project roc-6.4.0 25133 c7fe45cf4b819c5991fe208aaa96edf142730f1d)"
	.section	".note.GNU-stack","",@progbits
	.addrsig
	.addrsig_sym __hip_cuid_ee4a54d34a187a14
	.amdgpu_metadata
---
amdhsa.kernels:
  - .args:
      - .address_space:  global
        .offset:         0
        .size:           8
        .value_kind:     global_buffer
      - .actual_access:  read_only
        .address_space:  global
        .offset:         8
        .size:           8
        .value_kind:     global_buffer
      - .actual_access:  read_only
        .address_space:  global
        .offset:         16
        .size:           8
        .value_kind:     global_buffer
      - .offset:         24
        .size:           4
        .value_kind:     by_value
      - .offset:         28
        .size:           4
        .value_kind:     by_value
      - .offset:         32
        .size:           8
        .value_kind:     by_value
      - .offset:         40
        .size:           8
        .value_kind:     by_value
      - .offset:         48
        .size:           8
        .value_kind:     by_value
      - .offset:         56
        .size:           8
        .value_kind:     by_value
      - .offset:         64
        .size:           8
        .value_kind:     by_value
      - .offset:         72
        .size:           8
        .value_kind:     by_value
      - .offset:         80
        .size:           4
        .value_kind:     by_value
      - .offset:         88
        .size:           4
        .value_kind:     hidden_block_count_x
      - .offset:         92
        .size:           4
        .value_kind:     hidden_block_count_y
      - .offset:         96
        .size:           4
        .value_kind:     hidden_block_count_z
      - .offset:         100
        .size:           2
        .value_kind:     hidden_group_size_x
      - .offset:         102
        .size:           2
        .value_kind:     hidden_group_size_y
      - .offset:         104
        .size:           2
        .value_kind:     hidden_group_size_z
      - .offset:         106
        .size:           2
        .value_kind:     hidden_remainder_x
      - .offset:         108
        .size:           2
        .value_kind:     hidden_remainder_y
      - .offset:         110
        .size:           2
        .value_kind:     hidden_remainder_z
      - .offset:         128
        .size:           8
        .value_kind:     hidden_global_offset_x
      - .offset:         136
        .size:           8
        .value_kind:     hidden_global_offset_y
      - .offset:         144
        .size:           8
        .value_kind:     hidden_global_offset_z
      - .offset:         152
        .size:           2
        .value_kind:     hidden_grid_dims
    .group_segment_fixed_size: 0
    .kernarg_segment_align: 8
    .kernarg_segment_size: 344
    .language:       OpenCL C
    .language_version:
      - 2
      - 0
    .max_flat_workgroup_size: 1024
    .name:           _Z13maskSequencesPhPKdPKhiiddddddi
    .private_segment_fixed_size: 960
    .sgpr_count:     20
    .sgpr_spill_count: 0
    .symbol:         _Z13maskSequencesPhPKdPKhiiddddddi.kd
    .uniform_work_group_size: 1
    .uses_dynamic_stack: false
    .vgpr_count:     38
    .vgpr_spill_count: 0
    .wavefront_size: 32
    .workgroup_processor_mode: 1
amdhsa.target:   amdgcn-amd-amdhsa--gfx1100
amdhsa.version:
  - 1
  - 2
...

	.end_amdgpu_metadata
